;; amdgpu-corpus repo=ROCm/hip-tests kind=compiled arch=gfx1250 opt=O3
	.amdgcn_target "amdgcn-amd-amdhsa--gfx1250"
	.amdhsa_code_object_version 6
	.section	.text._ZL27kernel_cg_thread_block_typePiS_S_P4dim3S1_S1_,"axG",@progbits,_ZL27kernel_cg_thread_block_typePiS_S_P4dim3S1_S1_,comdat
	.globl	_ZL27kernel_cg_thread_block_typePiS_S_P4dim3S1_S1_ ; -- Begin function _ZL27kernel_cg_thread_block_typePiS_S_P4dim3S1_S1_
	.p2align	8
	.type	_ZL27kernel_cg_thread_block_typePiS_S_P4dim3S1_S1_,@function
_ZL27kernel_cg_thread_block_typePiS_S_P4dim3S1_S1_: ; @_ZL27kernel_cg_thread_block_typePiS_S_P4dim3S1_S1_
; %bb.0:
	s_clause 0x1
	s_load_b64 s[18:19], s[0:1], 0x3c
	s_load_b128 s[12:15], s[0:1], 0x20
	s_bfe_u32 s2, ttmp6, 0x4000c
	s_load_b256 s[4:11], s[0:1], 0x0
	s_add_co_i32 s2, s2, 1
	s_wait_xcnt 0x0
	s_and_b32 s1, ttmp6, 15
	s_mul_i32 s2, ttmp9, s2
	s_getreg_b32 s0, hwreg(HW_REG_IB_STS2, 6, 4)
	s_add_co_i32 s1, s1, s2
	v_bfe_u32 v2, v0, 20, 10
	v_bfe_u32 v1, v0, 10, 10
	s_cmp_eq_u32 s0, 0
	v_and_b32_e32 v0, 0x3ff, v0
	s_cselect_b32 s16, ttmp9, s1
	s_wait_kmcnt 0x0
	s_lshr_b32 s1, s18, 16
	s_and_b32 s3, s18, 0xffff
	v_mad_u32_u24 v3, v2, s1, v1
	v_mad_u32 v4, s16, s3, v0
	s_and_b32 s2, s19, 0xffff
	s_mul_i32 s17, s1, s3
	s_delay_alu instid0(SALU_CYCLE_1) | instskip(SKIP_1) | instid1(VALU_DEP_2)
	s_mul_i32 s17, s17, s2
	v_mad_u32 v3, v3, s3, v0
	v_dual_mov_b32 v6, s17 :: v_dual_ashrrev_i32 v5, 31, v4
	s_clause 0x1
	global_store_b32 v4, v6, s[4:5] scale_offset
	global_store_b32 v4, v3, s[6:7] scale_offset
	s_wait_xcnt 0x1
	s_mov_b32 s4, exec_lo
	s_wait_xcnt 0x0
	v_cmpx_lt_i32_e32 0, v0
	s_xor_b32 s4, exec_lo, s4
	s_cbranch_execz .LBB0_4
; %bb.1:
	s_mov_b32 s5, exec_lo
	v_cmpx_eq_u32_e32 1, v0
; %bb.2:
	v_dual_mov_b32 v3, 20 :: v_dual_mov_b32 v6, 0
	ds_store_b32 v6, v3 offset:4
; %bb.3:
	s_or_b32 exec_lo, exec_lo, s5
.LBB0_4:
	s_and_not1_saveexec_b32 s4, s4
; %bb.5:
	v_dual_mov_b32 v3, 10 :: v_dual_mov_b32 v6, 0
	ds_store_b32 v6, v3
; %bb.6:
	s_or_b32 exec_lo, exec_lo, s4
	v_mul_u64_e32 v[10:11], 12, v[4:5]
	v_mov_b32_e32 v3, 0
	s_wait_storecnt_dscnt 0x0
	s_barrier_signal -1
	s_barrier_wait -1
	v_lshl_add_u64 v[12:13], v[4:5], 2, s[8:9]
	v_mov_b32_e32 v4, s16
	ds_load_b64 v[6:7], v3
	s_bfe_u32 s5, ttmp6, 0x40010
	s_bfe_u32 s8, ttmp6, 0x40014
	s_and_b32 s4, ttmp7, 0xffff
	s_lshr_b32 s7, ttmp7, 16
	s_add_co_i32 s5, s5, 1
	s_add_co_i32 s8, s8, 1
	s_bfe_u32 s6, ttmp6, 0x40004
	s_bfe_u32 s9, ttmp6, 0x40008
	v_mov_b32_e32 v8, s3
	s_mul_i32 s3, s4, s5
	s_mul_i32 s5, s7, s8
	s_add_co_i32 s6, s6, s3
	s_add_co_i32 s9, s9, s5
	s_cmp_eq_u32 s0, 0
	v_mov_b32_e32 v9, s1
	s_cselect_b32 s0, s4, s6
	s_cselect_b32 s3, s7, s9
	v_mov_b32_e32 v5, s0
	s_wait_dscnt 0x0
	v_mul_lo_u32 v3, v6, v7
	v_mov_b32_e32 v6, s3
	v_add_nc_u64_e32 v[14:15], s[10:11], v[10:11]
	v_add_nc_u64_e32 v[16:17], s[12:13], v[10:11]
	;; [unrolled: 1-line block ×3, first 2 shown]
	v_mov_b32_e32 v10, s2
	global_store_b32 v[12:13], v3, off
	global_store_b96 v[14:15], v[4:6], off
	global_store_b96 v[16:17], v[0:2], off
	;; [unrolled: 1-line block ×3, first 2 shown]
	s_endpgm
	.section	.rodata,"a",@progbits
	.p2align	6, 0x0
	.amdhsa_kernel _ZL27kernel_cg_thread_block_typePiS_S_P4dim3S1_S1_
		.amdhsa_group_segment_fixed_size 8
		.amdhsa_private_segment_fixed_size 0
		.amdhsa_kernarg_size 304
		.amdhsa_user_sgpr_count 2
		.amdhsa_user_sgpr_dispatch_ptr 0
		.amdhsa_user_sgpr_queue_ptr 0
		.amdhsa_user_sgpr_kernarg_segment_ptr 1
		.amdhsa_user_sgpr_dispatch_id 0
		.amdhsa_user_sgpr_kernarg_preload_length 0
		.amdhsa_user_sgpr_kernarg_preload_offset 0
		.amdhsa_user_sgpr_private_segment_size 0
		.amdhsa_wavefront_size32 1
		.amdhsa_uses_dynamic_stack 0
		.amdhsa_enable_private_segment 0
		.amdhsa_system_sgpr_workgroup_id_x 1
		.amdhsa_system_sgpr_workgroup_id_y 1
		.amdhsa_system_sgpr_workgroup_id_z 1
		.amdhsa_system_sgpr_workgroup_info 0
		.amdhsa_system_vgpr_workitem_id 2
		.amdhsa_next_free_vgpr 20
		.amdhsa_next_free_sgpr 20
		.amdhsa_named_barrier_count 0
		.amdhsa_reserve_vcc 0
		.amdhsa_float_round_mode_32 0
		.amdhsa_float_round_mode_16_64 0
		.amdhsa_float_denorm_mode_32 3
		.amdhsa_float_denorm_mode_16_64 3
		.amdhsa_fp16_overflow 0
		.amdhsa_memory_ordered 1
		.amdhsa_forward_progress 1
		.amdhsa_inst_pref_size 4
		.amdhsa_round_robin_scheduling 0
		.amdhsa_exception_fp_ieee_invalid_op 0
		.amdhsa_exception_fp_denorm_src 0
		.amdhsa_exception_fp_ieee_div_zero 0
		.amdhsa_exception_fp_ieee_overflow 0
		.amdhsa_exception_fp_ieee_underflow 0
		.amdhsa_exception_fp_ieee_inexact 0
		.amdhsa_exception_int_div_zero 0
	.end_amdhsa_kernel
	.section	.text._ZL27kernel_cg_thread_block_typePiS_S_P4dim3S1_S1_,"axG",@progbits,_ZL27kernel_cg_thread_block_typePiS_S_P4dim3S1_S1_,comdat
.Lfunc_end0:
	.size	_ZL27kernel_cg_thread_block_typePiS_S_P4dim3S1_S1_, .Lfunc_end0-_ZL27kernel_cg_thread_block_typePiS_S_P4dim3S1_S1_
                                        ; -- End function
	.set _ZL27kernel_cg_thread_block_typePiS_S_P4dim3S1_S1_.num_vgpr, 20
	.set _ZL27kernel_cg_thread_block_typePiS_S_P4dim3S1_S1_.num_agpr, 0
	.set _ZL27kernel_cg_thread_block_typePiS_S_P4dim3S1_S1_.numbered_sgpr, 20
	.set _ZL27kernel_cg_thread_block_typePiS_S_P4dim3S1_S1_.num_named_barrier, 0
	.set _ZL27kernel_cg_thread_block_typePiS_S_P4dim3S1_S1_.private_seg_size, 0
	.set _ZL27kernel_cg_thread_block_typePiS_S_P4dim3S1_S1_.uses_vcc, 0
	.set _ZL27kernel_cg_thread_block_typePiS_S_P4dim3S1_S1_.uses_flat_scratch, 0
	.set _ZL27kernel_cg_thread_block_typePiS_S_P4dim3S1_S1_.has_dyn_sized_stack, 0
	.set _ZL27kernel_cg_thread_block_typePiS_S_P4dim3S1_S1_.has_recursion, 0
	.set _ZL27kernel_cg_thread_block_typePiS_S_P4dim3S1_S1_.has_indirect_call, 0
	.section	.AMDGPU.csdata,"",@progbits
; Kernel info:
; codeLenInByte = 480
; TotalNumSgprs: 20
; NumVgprs: 20
; ScratchSize: 0
; MemoryBound: 0
; FloatMode: 240
; IeeeMode: 1
; LDSByteSize: 8 bytes/workgroup (compile time only)
; SGPRBlocks: 0
; VGPRBlocks: 1
; NumSGPRsForWavesPerEU: 20
; NumVGPRsForWavesPerEU: 20
; NamedBarCnt: 0
; Occupancy: 16
; WaveLimiterHint : 0
; COMPUTE_PGM_RSRC2:SCRATCH_EN: 0
; COMPUTE_PGM_RSRC2:USER_SGPR: 2
; COMPUTE_PGM_RSRC2:TRAP_HANDLER: 0
; COMPUTE_PGM_RSRC2:TGID_X_EN: 1
; COMPUTE_PGM_RSRC2:TGID_Y_EN: 1
; COMPUTE_PGM_RSRC2:TGID_Z_EN: 1
; COMPUTE_PGM_RSRC2:TIDIG_COMP_CNT: 2
	.section	.text._ZL41kernel_cg_thread_block_type_via_base_typePiS_S_,"axG",@progbits,_ZL41kernel_cg_thread_block_type_via_base_typePiS_S_,comdat
	.globl	_ZL41kernel_cg_thread_block_type_via_base_typePiS_S_ ; -- Begin function _ZL41kernel_cg_thread_block_type_via_base_typePiS_S_
	.p2align	8
	.type	_ZL41kernel_cg_thread_block_type_via_base_typePiS_S_,@function
_ZL41kernel_cg_thread_block_type_via_base_typePiS_S_: ; @_ZL41kernel_cg_thread_block_type_via_base_typePiS_S_
; %bb.0:
	s_load_b64 s[8:9], s[0:1], 0x24
	s_bfe_u32 s2, ttmp6, 0x4000c
	s_and_b32 s10, ttmp6, 15
	s_add_co_i32 s12, s2, 1
	s_clause 0x1
	s_load_b128 s[4:7], s[0:1], 0x0
	s_load_b64 s[2:3], s[0:1], 0x10
	s_wait_xcnt 0x0
	s_mul_i32 s0, ttmp9, s12
	s_getreg_b32 s11, hwreg(HW_REG_IB_STS2, 6, 4)
	v_and_b32_e32 v2, 0x3ff, v0
	v_bfe_u32 v1, v0, 10, 10
	v_bfe_u32 v0, v0, 20, 10
	s_add_co_i32 s10, s10, s0
	s_wait_kmcnt 0x0
	s_and_b32 s1, s9, 0xffff
	s_lshr_b32 s9, s8, 16
	s_and_b32 s8, s8, 0xffff
	s_cmp_eq_u32 s11, 0
	v_mad_u32_u24 v1, v0, s9, v1
	s_cselect_b32 s0, ttmp9, s10
	s_delay_alu instid0(SALU_CYCLE_1) | instskip(SKIP_1) | instid1(VALU_DEP_2)
	v_mad_u32 v0, s0, s8, v2
	s_mul_i32 s0, s9, s8
	v_mad_u32 v3, v1, s8, v2
	s_mul_i32 s0, s0, s1
	s_delay_alu instid0(SALU_CYCLE_1) | instskip(SKIP_1) | instid1(VALU_DEP_3)
	v_mov_b32_e32 v4, s0
	s_mov_b32 s0, exec_lo
	v_ashrrev_i32_e32 v1, 31, v0
	s_clause 0x1
	global_store_b32 v0, v4, s[4:5] scale_offset
	global_store_b32 v0, v3, s[6:7] scale_offset
	s_wait_xcnt 0x0
	v_cmpx_lt_i32_e32 0, v2
	s_xor_b32 s0, exec_lo, s0
	s_cbranch_execz .LBB1_4
; %bb.1:
	s_mov_b32 s1, exec_lo
	v_cmpx_eq_u32_e32 1, v2
; %bb.2:
	v_dual_mov_b32 v2, 20 :: v_dual_mov_b32 v3, 0
	ds_store_b32 v3, v2 offset:4
; %bb.3:
	s_or_b32 exec_lo, exec_lo, s1
.LBB1_4:
	s_and_not1_saveexec_b32 s0, s0
; %bb.5:
	v_dual_mov_b32 v2, 10 :: v_dual_mov_b32 v3, 0
	ds_store_b32 v3, v2
; %bb.6:
	s_or_b32 exec_lo, exec_lo, s0
	v_mov_b32_e32 v2, 0
	s_wait_storecnt_dscnt 0x0
	s_barrier_signal -1
	s_barrier_wait -1
	ds_load_b64 v[2:3], v2
	v_lshl_add_u64 v[0:1], v[0:1], 2, s[2:3]
	s_wait_dscnt 0x0
	v_mul_lo_u32 v2, v2, v3
	global_store_b32 v[0:1], v2, off
	s_endpgm
	.section	.rodata,"a",@progbits
	.p2align	6, 0x0
	.amdhsa_kernel _ZL41kernel_cg_thread_block_type_via_base_typePiS_S_
		.amdhsa_group_segment_fixed_size 8
		.amdhsa_private_segment_fixed_size 0
		.amdhsa_kernarg_size 280
		.amdhsa_user_sgpr_count 2
		.amdhsa_user_sgpr_dispatch_ptr 0
		.amdhsa_user_sgpr_queue_ptr 0
		.amdhsa_user_sgpr_kernarg_segment_ptr 1
		.amdhsa_user_sgpr_dispatch_id 0
		.amdhsa_user_sgpr_kernarg_preload_length 0
		.amdhsa_user_sgpr_kernarg_preload_offset 0
		.amdhsa_user_sgpr_private_segment_size 0
		.amdhsa_wavefront_size32 1
		.amdhsa_uses_dynamic_stack 0
		.amdhsa_enable_private_segment 0
		.amdhsa_system_sgpr_workgroup_id_x 1
		.amdhsa_system_sgpr_workgroup_id_y 0
		.amdhsa_system_sgpr_workgroup_id_z 0
		.amdhsa_system_sgpr_workgroup_info 0
		.amdhsa_system_vgpr_workitem_id 2
		.amdhsa_next_free_vgpr 5
		.amdhsa_next_free_sgpr 13
		.amdhsa_named_barrier_count 0
		.amdhsa_reserve_vcc 0
		.amdhsa_float_round_mode_32 0
		.amdhsa_float_round_mode_16_64 0
		.amdhsa_float_denorm_mode_32 3
		.amdhsa_float_denorm_mode_16_64 3
		.amdhsa_fp16_overflow 0
		.amdhsa_memory_ordered 1
		.amdhsa_forward_progress 1
		.amdhsa_inst_pref_size 3
		.amdhsa_round_robin_scheduling 0
		.amdhsa_exception_fp_ieee_invalid_op 0
		.amdhsa_exception_fp_denorm_src 0
		.amdhsa_exception_fp_ieee_div_zero 0
		.amdhsa_exception_fp_ieee_overflow 0
		.amdhsa_exception_fp_ieee_underflow 0
		.amdhsa_exception_fp_ieee_inexact 0
		.amdhsa_exception_int_div_zero 0
	.end_amdhsa_kernel
	.section	.text._ZL41kernel_cg_thread_block_type_via_base_typePiS_S_,"axG",@progbits,_ZL41kernel_cg_thread_block_type_via_base_typePiS_S_,comdat
.Lfunc_end1:
	.size	_ZL41kernel_cg_thread_block_type_via_base_typePiS_S_, .Lfunc_end1-_ZL41kernel_cg_thread_block_type_via_base_typePiS_S_
                                        ; -- End function
	.set _ZL41kernel_cg_thread_block_type_via_base_typePiS_S_.num_vgpr, 5
	.set _ZL41kernel_cg_thread_block_type_via_base_typePiS_S_.num_agpr, 0
	.set _ZL41kernel_cg_thread_block_type_via_base_typePiS_S_.numbered_sgpr, 13
	.set _ZL41kernel_cg_thread_block_type_via_base_typePiS_S_.num_named_barrier, 0
	.set _ZL41kernel_cg_thread_block_type_via_base_typePiS_S_.private_seg_size, 0
	.set _ZL41kernel_cg_thread_block_type_via_base_typePiS_S_.uses_vcc, 0
	.set _ZL41kernel_cg_thread_block_type_via_base_typePiS_S_.uses_flat_scratch, 0
	.set _ZL41kernel_cg_thread_block_type_via_base_typePiS_S_.has_dyn_sized_stack, 0
	.set _ZL41kernel_cg_thread_block_type_via_base_typePiS_S_.has_recursion, 0
	.set _ZL41kernel_cg_thread_block_type_via_base_typePiS_S_.has_indirect_call, 0
	.section	.AMDGPU.csdata,"",@progbits
; Kernel info:
; codeLenInByte = 324
; TotalNumSgprs: 13
; NumVgprs: 5
; ScratchSize: 0
; MemoryBound: 0
; FloatMode: 240
; IeeeMode: 1
; LDSByteSize: 8 bytes/workgroup (compile time only)
; SGPRBlocks: 0
; VGPRBlocks: 0
; NumSGPRsForWavesPerEU: 13
; NumVGPRsForWavesPerEU: 5
; NamedBarCnt: 0
; Occupancy: 16
; WaveLimiterHint : 0
; COMPUTE_PGM_RSRC2:SCRATCH_EN: 0
; COMPUTE_PGM_RSRC2:USER_SGPR: 2
; COMPUTE_PGM_RSRC2:TRAP_HANDLER: 0
; COMPUTE_PGM_RSRC2:TGID_X_EN: 1
; COMPUTE_PGM_RSRC2:TGID_Y_EN: 0
; COMPUTE_PGM_RSRC2:TGID_Z_EN: 0
; COMPUTE_PGM_RSRC2:TIDIG_COMP_CNT: 2
	.section	.text._ZL42kernel_cg_thread_block_type_via_public_apiPiS_S_,"axG",@progbits,_ZL42kernel_cg_thread_block_type_via_public_apiPiS_S_,comdat
	.globl	_ZL42kernel_cg_thread_block_type_via_public_apiPiS_S_ ; -- Begin function _ZL42kernel_cg_thread_block_type_via_public_apiPiS_S_
	.p2align	8
	.type	_ZL42kernel_cg_thread_block_type_via_public_apiPiS_S_,@function
_ZL42kernel_cg_thread_block_type_via_public_apiPiS_S_: ; @_ZL42kernel_cg_thread_block_type_via_public_apiPiS_S_
; %bb.0:
	s_load_b64 s[8:9], s[0:1], 0x24
	s_bfe_u32 s2, ttmp6, 0x4000c
	s_and_b32 s10, ttmp6, 15
	s_add_co_i32 s12, s2, 1
	s_clause 0x1
	s_load_b128 s[4:7], s[0:1], 0x0
	s_load_b64 s[2:3], s[0:1], 0x10
	s_wait_xcnt 0x0
	s_mul_i32 s0, ttmp9, s12
	s_getreg_b32 s11, hwreg(HW_REG_IB_STS2, 6, 4)
	v_and_b32_e32 v2, 0x3ff, v0
	v_bfe_u32 v1, v0, 10, 10
	v_bfe_u32 v0, v0, 20, 10
	s_add_co_i32 s10, s10, s0
	s_wait_kmcnt 0x0
	s_and_b32 s1, s9, 0xffff
	s_lshr_b32 s9, s8, 16
	s_and_b32 s8, s8, 0xffff
	s_cmp_eq_u32 s11, 0
	v_mad_u32_u24 v1, v0, s9, v1
	s_cselect_b32 s0, ttmp9, s10
	s_delay_alu instid0(SALU_CYCLE_1) | instskip(SKIP_1) | instid1(VALU_DEP_2)
	v_mad_u32 v0, s0, s8, v2
	s_mul_i32 s0, s9, s8
	v_mad_u32 v3, v1, s8, v2
	s_mul_i32 s0, s0, s1
	s_delay_alu instid0(SALU_CYCLE_1) | instskip(SKIP_1) | instid1(VALU_DEP_3)
	v_mov_b32_e32 v4, s0
	s_mov_b32 s0, exec_lo
	v_ashrrev_i32_e32 v1, 31, v0
	s_clause 0x1
	global_store_b32 v0, v4, s[4:5] scale_offset
	global_store_b32 v0, v3, s[6:7] scale_offset
	s_wait_xcnt 0x0
	v_cmpx_lt_i32_e32 0, v2
	s_xor_b32 s0, exec_lo, s0
	s_cbranch_execz .LBB2_4
; %bb.1:
	s_mov_b32 s1, exec_lo
	v_cmpx_eq_u32_e32 1, v2
; %bb.2:
	v_dual_mov_b32 v2, 20 :: v_dual_mov_b32 v3, 0
	ds_store_b32 v3, v2 offset:4
; %bb.3:
	s_or_b32 exec_lo, exec_lo, s1
.LBB2_4:
	s_and_not1_saveexec_b32 s0, s0
; %bb.5:
	v_dual_mov_b32 v2, 10 :: v_dual_mov_b32 v3, 0
	ds_store_b32 v3, v2
; %bb.6:
	s_or_b32 exec_lo, exec_lo, s0
	v_mov_b32_e32 v2, 0
	s_wait_storecnt_dscnt 0x0
	s_barrier_signal -1
	s_barrier_wait -1
	ds_load_b64 v[2:3], v2
	v_lshl_add_u64 v[0:1], v[0:1], 2, s[2:3]
	s_wait_dscnt 0x0
	v_mul_lo_u32 v2, v2, v3
	global_store_b32 v[0:1], v2, off
	s_endpgm
	.section	.rodata,"a",@progbits
	.p2align	6, 0x0
	.amdhsa_kernel _ZL42kernel_cg_thread_block_type_via_public_apiPiS_S_
		.amdhsa_group_segment_fixed_size 8
		.amdhsa_private_segment_fixed_size 0
		.amdhsa_kernarg_size 280
		.amdhsa_user_sgpr_count 2
		.amdhsa_user_sgpr_dispatch_ptr 0
		.amdhsa_user_sgpr_queue_ptr 0
		.amdhsa_user_sgpr_kernarg_segment_ptr 1
		.amdhsa_user_sgpr_dispatch_id 0
		.amdhsa_user_sgpr_kernarg_preload_length 0
		.amdhsa_user_sgpr_kernarg_preload_offset 0
		.amdhsa_user_sgpr_private_segment_size 0
		.amdhsa_wavefront_size32 1
		.amdhsa_uses_dynamic_stack 0
		.amdhsa_enable_private_segment 0
		.amdhsa_system_sgpr_workgroup_id_x 1
		.amdhsa_system_sgpr_workgroup_id_y 0
		.amdhsa_system_sgpr_workgroup_id_z 0
		.amdhsa_system_sgpr_workgroup_info 0
		.amdhsa_system_vgpr_workitem_id 2
		.amdhsa_next_free_vgpr 5
		.amdhsa_next_free_sgpr 13
		.amdhsa_named_barrier_count 0
		.amdhsa_reserve_vcc 0
		.amdhsa_float_round_mode_32 0
		.amdhsa_float_round_mode_16_64 0
		.amdhsa_float_denorm_mode_32 3
		.amdhsa_float_denorm_mode_16_64 3
		.amdhsa_fp16_overflow 0
		.amdhsa_memory_ordered 1
		.amdhsa_forward_progress 1
		.amdhsa_inst_pref_size 3
		.amdhsa_round_robin_scheduling 0
		.amdhsa_exception_fp_ieee_invalid_op 0
		.amdhsa_exception_fp_denorm_src 0
		.amdhsa_exception_fp_ieee_div_zero 0
		.amdhsa_exception_fp_ieee_overflow 0
		.amdhsa_exception_fp_ieee_underflow 0
		.amdhsa_exception_fp_ieee_inexact 0
		.amdhsa_exception_int_div_zero 0
	.end_amdhsa_kernel
	.section	.text._ZL42kernel_cg_thread_block_type_via_public_apiPiS_S_,"axG",@progbits,_ZL42kernel_cg_thread_block_type_via_public_apiPiS_S_,comdat
.Lfunc_end2:
	.size	_ZL42kernel_cg_thread_block_type_via_public_apiPiS_S_, .Lfunc_end2-_ZL42kernel_cg_thread_block_type_via_public_apiPiS_S_
                                        ; -- End function
	.set _ZL42kernel_cg_thread_block_type_via_public_apiPiS_S_.num_vgpr, 5
	.set _ZL42kernel_cg_thread_block_type_via_public_apiPiS_S_.num_agpr, 0
	.set _ZL42kernel_cg_thread_block_type_via_public_apiPiS_S_.numbered_sgpr, 13
	.set _ZL42kernel_cg_thread_block_type_via_public_apiPiS_S_.num_named_barrier, 0
	.set _ZL42kernel_cg_thread_block_type_via_public_apiPiS_S_.private_seg_size, 0
	.set _ZL42kernel_cg_thread_block_type_via_public_apiPiS_S_.uses_vcc, 0
	.set _ZL42kernel_cg_thread_block_type_via_public_apiPiS_S_.uses_flat_scratch, 0
	.set _ZL42kernel_cg_thread_block_type_via_public_apiPiS_S_.has_dyn_sized_stack, 0
	.set _ZL42kernel_cg_thread_block_type_via_public_apiPiS_S_.has_recursion, 0
	.set _ZL42kernel_cg_thread_block_type_via_public_apiPiS_S_.has_indirect_call, 0
	.section	.AMDGPU.csdata,"",@progbits
; Kernel info:
; codeLenInByte = 324
; TotalNumSgprs: 13
; NumVgprs: 5
; ScratchSize: 0
; MemoryBound: 0
; FloatMode: 240
; IeeeMode: 1
; LDSByteSize: 8 bytes/workgroup (compile time only)
; SGPRBlocks: 0
; VGPRBlocks: 0
; NumSGPRsForWavesPerEU: 13
; NumVGPRsForWavesPerEU: 5
; NamedBarCnt: 0
; Occupancy: 16
; WaveLimiterHint : 0
; COMPUTE_PGM_RSRC2:SCRATCH_EN: 0
; COMPUTE_PGM_RSRC2:USER_SGPR: 2
; COMPUTE_PGM_RSRC2:TRAP_HANDLER: 0
; COMPUTE_PGM_RSRC2:TGID_X_EN: 1
; COMPUTE_PGM_RSRC2:TGID_Y_EN: 0
; COMPUTE_PGM_RSRC2:TGID_Z_EN: 0
; COMPUTE_PGM_RSRC2:TIDIG_COMP_CNT: 2
	.section	.AMDGPU.gpr_maximums,"",@progbits
	.set amdgpu.max_num_vgpr, 0
	.set amdgpu.max_num_agpr, 0
	.set amdgpu.max_num_sgpr, 0
	.section	.AMDGPU.csdata,"",@progbits
	.type	__hip_cuid_584f7d7b91e87602,@object ; @__hip_cuid_584f7d7b91e87602
	.section	.bss,"aw",@nobits
	.globl	__hip_cuid_584f7d7b91e87602
__hip_cuid_584f7d7b91e87602:
	.byte	0                               ; 0x0
	.size	__hip_cuid_584f7d7b91e87602, 1

	.ident	"AMD clang version 22.0.0git (https://github.com/RadeonOpenCompute/llvm-project roc-7.2.4 26084 f58b06dce1f9c15707c5f808fd002e18c2accf7e)"
	.section	".note.GNU-stack","",@progbits
	.addrsig
	.addrsig_sym __hip_cuid_584f7d7b91e87602
	.amdgpu_metadata
---
amdhsa.kernels:
  - .args:
      - .address_space:  global
        .offset:         0
        .size:           8
        .value_kind:     global_buffer
      - .address_space:  global
        .offset:         8
        .size:           8
        .value_kind:     global_buffer
      - .address_space:  global
        .offset:         16
        .size:           8
        .value_kind:     global_buffer
      - .address_space:  global
        .offset:         24
        .size:           8
        .value_kind:     global_buffer
      - .address_space:  global
        .offset:         32
        .size:           8
        .value_kind:     global_buffer
      - .address_space:  global
        .offset:         40
        .size:           8
        .value_kind:     global_buffer
      - .offset:         48
        .size:           4
        .value_kind:     hidden_block_count_x
      - .offset:         52
        .size:           4
        .value_kind:     hidden_block_count_y
      - .offset:         56
        .size:           4
        .value_kind:     hidden_block_count_z
      - .offset:         60
        .size:           2
        .value_kind:     hidden_group_size_x
      - .offset:         62
        .size:           2
        .value_kind:     hidden_group_size_y
      - .offset:         64
        .size:           2
        .value_kind:     hidden_group_size_z
      - .offset:         66
        .size:           2
        .value_kind:     hidden_remainder_x
      - .offset:         68
        .size:           2
        .value_kind:     hidden_remainder_y
      - .offset:         70
        .size:           2
        .value_kind:     hidden_remainder_z
      - .offset:         88
        .size:           8
        .value_kind:     hidden_global_offset_x
      - .offset:         96
        .size:           8
        .value_kind:     hidden_global_offset_y
      - .offset:         104
        .size:           8
        .value_kind:     hidden_global_offset_z
      - .offset:         112
        .size:           2
        .value_kind:     hidden_grid_dims
    .group_segment_fixed_size: 8
    .kernarg_segment_align: 8
    .kernarg_segment_size: 304
    .language:       OpenCL C
    .language_version:
      - 2
      - 0
    .max_flat_workgroup_size: 1024
    .name:           _ZL27kernel_cg_thread_block_typePiS_S_P4dim3S1_S1_
    .private_segment_fixed_size: 0
    .sgpr_count:     20
    .sgpr_spill_count: 0
    .symbol:         _ZL27kernel_cg_thread_block_typePiS_S_P4dim3S1_S1_.kd
    .uniform_work_group_size: 1
    .uses_dynamic_stack: false
    .vgpr_count:     20
    .vgpr_spill_count: 0
    .wavefront_size: 32
  - .args:
      - .address_space:  global
        .offset:         0
        .size:           8
        .value_kind:     global_buffer
      - .address_space:  global
        .offset:         8
        .size:           8
        .value_kind:     global_buffer
      - .address_space:  global
        .offset:         16
        .size:           8
        .value_kind:     global_buffer
      - .offset:         24
        .size:           4
        .value_kind:     hidden_block_count_x
      - .offset:         28
        .size:           4
        .value_kind:     hidden_block_count_y
      - .offset:         32
        .size:           4
        .value_kind:     hidden_block_count_z
      - .offset:         36
        .size:           2
        .value_kind:     hidden_group_size_x
      - .offset:         38
        .size:           2
        .value_kind:     hidden_group_size_y
      - .offset:         40
        .size:           2
        .value_kind:     hidden_group_size_z
      - .offset:         42
        .size:           2
        .value_kind:     hidden_remainder_x
      - .offset:         44
        .size:           2
        .value_kind:     hidden_remainder_y
      - .offset:         46
        .size:           2
        .value_kind:     hidden_remainder_z
      - .offset:         64
        .size:           8
        .value_kind:     hidden_global_offset_x
      - .offset:         72
        .size:           8
        .value_kind:     hidden_global_offset_y
      - .offset:         80
        .size:           8
        .value_kind:     hidden_global_offset_z
      - .offset:         88
        .size:           2
        .value_kind:     hidden_grid_dims
    .group_segment_fixed_size: 8
    .kernarg_segment_align: 8
    .kernarg_segment_size: 280
    .language:       OpenCL C
    .language_version:
      - 2
      - 0
    .max_flat_workgroup_size: 1024
    .name:           _ZL41kernel_cg_thread_block_type_via_base_typePiS_S_
    .private_segment_fixed_size: 0
    .sgpr_count:     13
    .sgpr_spill_count: 0
    .symbol:         _ZL41kernel_cg_thread_block_type_via_base_typePiS_S_.kd
    .uniform_work_group_size: 1
    .uses_dynamic_stack: false
    .vgpr_count:     5
    .vgpr_spill_count: 0
    .wavefront_size: 32
  - .args:
      - .address_space:  global
        .offset:         0
        .size:           8
        .value_kind:     global_buffer
      - .address_space:  global
        .offset:         8
        .size:           8
        .value_kind:     global_buffer
      - .address_space:  global
        .offset:         16
        .size:           8
        .value_kind:     global_buffer
      - .offset:         24
        .size:           4
        .value_kind:     hidden_block_count_x
      - .offset:         28
        .size:           4
        .value_kind:     hidden_block_count_y
      - .offset:         32
        .size:           4
        .value_kind:     hidden_block_count_z
      - .offset:         36
        .size:           2
        .value_kind:     hidden_group_size_x
      - .offset:         38
        .size:           2
        .value_kind:     hidden_group_size_y
      - .offset:         40
        .size:           2
        .value_kind:     hidden_group_size_z
      - .offset:         42
        .size:           2
        .value_kind:     hidden_remainder_x
      - .offset:         44
        .size:           2
        .value_kind:     hidden_remainder_y
      - .offset:         46
        .size:           2
        .value_kind:     hidden_remainder_z
      - .offset:         64
        .size:           8
        .value_kind:     hidden_global_offset_x
      - .offset:         72
        .size:           8
        .value_kind:     hidden_global_offset_y
      - .offset:         80
        .size:           8
        .value_kind:     hidden_global_offset_z
      - .offset:         88
        .size:           2
        .value_kind:     hidden_grid_dims
    .group_segment_fixed_size: 8
    .kernarg_segment_align: 8
    .kernarg_segment_size: 280
    .language:       OpenCL C
    .language_version:
      - 2
      - 0
    .max_flat_workgroup_size: 1024
    .name:           _ZL42kernel_cg_thread_block_type_via_public_apiPiS_S_
    .private_segment_fixed_size: 0
    .sgpr_count:     13
    .sgpr_spill_count: 0
    .symbol:         _ZL42kernel_cg_thread_block_type_via_public_apiPiS_S_.kd
    .uniform_work_group_size: 1
    .uses_dynamic_stack: false
    .vgpr_count:     5
    .vgpr_spill_count: 0
    .wavefront_size: 32
amdhsa.target:   amdgcn-amd-amdhsa--gfx1250
amdhsa.version:
  - 1
  - 2
...

	.end_amdgpu_metadata
